;; amdgpu-corpus repo=ROCm/rocFFT kind=compiled arch=gfx950 opt=O3
	.text
	.amdgcn_target "amdgcn-amd-amdhsa--gfx950"
	.amdhsa_code_object_version 6
	.protected	fft_rtc_fwd_len1848_factors_3_11_7_4_2_wgs_231_tpt_231_halfLds_sp_op_CI_CI_unitstride_sbrr_dirReg ; -- Begin function fft_rtc_fwd_len1848_factors_3_11_7_4_2_wgs_231_tpt_231_halfLds_sp_op_CI_CI_unitstride_sbrr_dirReg
	.globl	fft_rtc_fwd_len1848_factors_3_11_7_4_2_wgs_231_tpt_231_halfLds_sp_op_CI_CI_unitstride_sbrr_dirReg
	.p2align	8
	.type	fft_rtc_fwd_len1848_factors_3_11_7_4_2_wgs_231_tpt_231_halfLds_sp_op_CI_CI_unitstride_sbrr_dirReg,@function
fft_rtc_fwd_len1848_factors_3_11_7_4_2_wgs_231_tpt_231_halfLds_sp_op_CI_CI_unitstride_sbrr_dirReg: ; @fft_rtc_fwd_len1848_factors_3_11_7_4_2_wgs_231_tpt_231_halfLds_sp_op_CI_CI_unitstride_sbrr_dirReg
; %bb.0:
	s_load_dwordx4 s[4:7], s[0:1], 0x58
	s_load_dwordx4 s[8:11], s[0:1], 0x0
	;; [unrolled: 1-line block ×3, first 2 shown]
	v_mul_u32_u24_e32 v1, 0x11c, v0
	v_add_u32_sdwa v10, s2, v1 dst_sel:DWORD dst_unused:UNUSED_PAD src0_sel:DWORD src1_sel:WORD_1
	v_mov_b32_e32 v6, 0
	s_waitcnt lgkmcnt(0)
	v_cmp_lt_u64_e64 s[2:3], s[10:11], 2
	v_mov_b32_e32 v11, v6
	s_and_b64 vcc, exec, s[2:3]
	v_mov_b64_e32 v[8:9], 0
	s_cbranch_vccnz .LBB0_8
; %bb.1:
	s_load_dwordx2 s[2:3], s[0:1], 0x10
	s_add_u32 s16, s14, 8
	s_addc_u32 s17, s15, 0
	s_add_u32 s18, s12, 8
	s_addc_u32 s19, s13, 0
	s_waitcnt lgkmcnt(0)
	s_add_u32 s20, s2, 8
	v_mov_b64_e32 v[8:9], 0
	s_addc_u32 s21, s3, 0
	s_mov_b64 s[22:23], 1
	v_mov_b64_e32 v[2:3], v[8:9]
.LBB0_2:                                ; =>This Inner Loop Header: Depth=1
	s_load_dwordx2 s[24:25], s[20:21], 0x0
                                        ; implicit-def: $vgpr4_vgpr5
	s_waitcnt lgkmcnt(0)
	v_or_b32_e32 v7, s25, v11
	v_cmp_ne_u64_e32 vcc, 0, v[6:7]
	s_and_saveexec_b64 s[2:3], vcc
	s_xor_b64 s[26:27], exec, s[2:3]
	s_cbranch_execz .LBB0_4
; %bb.3:                                ;   in Loop: Header=BB0_2 Depth=1
	v_cvt_f32_u32_e32 v1, s24
	v_cvt_f32_u32_e32 v4, s25
	s_sub_u32 s2, 0, s24
	s_subb_u32 s3, 0, s25
	v_fmac_f32_e32 v1, 0x4f800000, v4
	v_rcp_f32_e32 v1, v1
	s_nop 0
	v_mul_f32_e32 v1, 0x5f7ffffc, v1
	v_mul_f32_e32 v4, 0x2f800000, v1
	v_trunc_f32_e32 v4, v4
	v_fmac_f32_e32 v1, 0xcf800000, v4
	v_cvt_u32_f32_e32 v7, v4
	v_cvt_u32_f32_e32 v1, v1
	v_mul_lo_u32 v4, s2, v7
	v_mul_hi_u32 v12, s2, v1
	v_mul_lo_u32 v5, s3, v1
	v_add_u32_e32 v12, v12, v4
	v_mul_lo_u32 v14, s2, v1
	v_add_u32_e32 v15, v12, v5
	v_mul_hi_u32 v4, v1, v14
	v_mul_hi_u32 v13, v1, v15
	v_mul_lo_u32 v12, v1, v15
	v_mov_b32_e32 v5, v6
	v_lshl_add_u64 v[4:5], v[4:5], 0, v[12:13]
	v_mul_hi_u32 v13, v7, v14
	v_mul_lo_u32 v14, v7, v14
	v_add_co_u32_e32 v4, vcc, v4, v14
	v_mul_hi_u32 v12, v7, v15
	s_nop 0
	v_addc_co_u32_e32 v4, vcc, v5, v13, vcc
	v_mov_b32_e32 v5, v6
	s_nop 0
	v_addc_co_u32_e32 v13, vcc, 0, v12, vcc
	v_mul_lo_u32 v12, v7, v15
	v_lshl_add_u64 v[4:5], v[4:5], 0, v[12:13]
	v_add_co_u32_e32 v1, vcc, v1, v4
	v_mul_lo_u32 v12, s2, v1
	s_nop 0
	v_addc_co_u32_e32 v7, vcc, v7, v5, vcc
	v_mul_lo_u32 v4, s2, v7
	v_mul_hi_u32 v5, s2, v1
	v_add_u32_e32 v4, v5, v4
	v_mul_lo_u32 v5, s3, v1
	v_add_u32_e32 v14, v4, v5
	v_mul_hi_u32 v16, v7, v12
	v_mul_lo_u32 v17, v7, v12
	v_mul_hi_u32 v5, v1, v14
	v_mul_lo_u32 v4, v1, v14
	v_mul_hi_u32 v12, v1, v12
	v_mov_b32_e32 v13, v6
	v_lshl_add_u64 v[4:5], v[12:13], 0, v[4:5]
	v_add_co_u32_e32 v4, vcc, v4, v17
	v_mul_hi_u32 v15, v7, v14
	s_nop 0
	v_addc_co_u32_e32 v4, vcc, v5, v16, vcc
	v_mul_lo_u32 v12, v7, v14
	s_nop 0
	v_addc_co_u32_e32 v13, vcc, 0, v15, vcc
	v_mov_b32_e32 v5, v6
	v_lshl_add_u64 v[4:5], v[4:5], 0, v[12:13]
	v_add_co_u32_e32 v1, vcc, v1, v4
	v_mul_hi_u32 v12, v10, v1
	s_nop 0
	v_addc_co_u32_e32 v7, vcc, v7, v5, vcc
	v_mad_u64_u32 v[4:5], s[2:3], v10, v7, 0
	v_mov_b32_e32 v13, v6
	v_lshl_add_u64 v[4:5], v[12:13], 0, v[4:5]
	v_mad_u64_u32 v[14:15], s[2:3], v11, v1, 0
	v_add_co_u32_e32 v1, vcc, v4, v14
	v_mad_u64_u32 v[12:13], s[2:3], v11, v7, 0
	s_nop 0
	v_addc_co_u32_e32 v4, vcc, v5, v15, vcc
	v_mov_b32_e32 v5, v6
	s_nop 0
	v_addc_co_u32_e32 v13, vcc, 0, v13, vcc
	v_lshl_add_u64 v[4:5], v[4:5], 0, v[12:13]
	v_mul_lo_u32 v1, s25, v4
	v_mul_lo_u32 v7, s24, v5
	v_mad_u64_u32 v[12:13], s[2:3], s24, v4, 0
	v_add3_u32 v1, v13, v7, v1
	v_sub_u32_e32 v7, v11, v1
	v_mov_b32_e32 v13, s25
	v_sub_co_u32_e32 v16, vcc, v10, v12
	v_lshl_add_u64 v[14:15], v[4:5], 0, 1
	s_nop 0
	v_subb_co_u32_e64 v7, s[2:3], v7, v13, vcc
	v_subrev_co_u32_e64 v12, s[2:3], s24, v16
	v_subb_co_u32_e32 v1, vcc, v11, v1, vcc
	s_nop 0
	v_subbrev_co_u32_e64 v7, s[2:3], 0, v7, s[2:3]
	v_cmp_le_u32_e64 s[2:3], s25, v7
	v_cmp_le_u32_e32 vcc, s25, v1
	s_nop 0
	v_cndmask_b32_e64 v13, 0, -1, s[2:3]
	v_cmp_le_u32_e64 s[2:3], s24, v12
	s_nop 1
	v_cndmask_b32_e64 v12, 0, -1, s[2:3]
	v_cmp_eq_u32_e64 s[2:3], s25, v7
	s_nop 1
	v_cndmask_b32_e64 v7, v13, v12, s[2:3]
	v_lshl_add_u64 v[12:13], v[4:5], 0, 2
	v_cmp_ne_u32_e64 s[2:3], 0, v7
	s_nop 1
	v_cndmask_b32_e64 v7, v15, v13, s[2:3]
	v_cndmask_b32_e64 v13, 0, -1, vcc
	v_cmp_le_u32_e32 vcc, s24, v16
	s_nop 1
	v_cndmask_b32_e64 v15, 0, -1, vcc
	v_cmp_eq_u32_e32 vcc, s25, v1
	s_nop 1
	v_cndmask_b32_e32 v1, v13, v15, vcc
	v_cmp_ne_u32_e32 vcc, 0, v1
	v_cndmask_b32_e64 v1, v14, v12, s[2:3]
	s_nop 0
	v_cndmask_b32_e32 v5, v5, v7, vcc
	v_cndmask_b32_e32 v4, v4, v1, vcc
.LBB0_4:                                ;   in Loop: Header=BB0_2 Depth=1
	s_andn2_saveexec_b64 s[2:3], s[26:27]
	s_cbranch_execz .LBB0_6
; %bb.5:                                ;   in Loop: Header=BB0_2 Depth=1
	v_cvt_f32_u32_e32 v1, s24
	s_sub_i32 s26, 0, s24
	v_rcp_iflag_f32_e32 v1, v1
	s_nop 0
	v_mul_f32_e32 v1, 0x4f7ffffe, v1
	v_cvt_u32_f32_e32 v1, v1
	v_mul_lo_u32 v4, s26, v1
	v_mul_hi_u32 v4, v1, v4
	v_add_u32_e32 v1, v1, v4
	v_mul_hi_u32 v1, v10, v1
	v_mul_lo_u32 v4, v1, s24
	v_sub_u32_e32 v4, v10, v4
	v_add_u32_e32 v5, 1, v1
	v_subrev_u32_e32 v7, s24, v4
	v_cmp_le_u32_e32 vcc, s24, v4
	s_nop 1
	v_cndmask_b32_e32 v4, v4, v7, vcc
	v_cndmask_b32_e32 v1, v1, v5, vcc
	v_add_u32_e32 v5, 1, v1
	v_cmp_le_u32_e32 vcc, s24, v4
	s_nop 1
	v_cndmask_b32_e32 v4, v1, v5, vcc
	v_mov_b32_e32 v5, v6
.LBB0_6:                                ;   in Loop: Header=BB0_2 Depth=1
	s_or_b64 exec, exec, s[2:3]
	v_mad_u64_u32 v[12:13], s[2:3], v4, s24, 0
	s_load_dwordx2 s[2:3], s[18:19], 0x0
	v_mul_lo_u32 v1, v5, s24
	v_mul_lo_u32 v7, v4, s25
	s_load_dwordx2 s[24:25], s[16:17], 0x0
	s_add_u32 s22, s22, 1
	v_add3_u32 v1, v13, v7, v1
	v_sub_co_u32_e32 v7, vcc, v10, v12
	s_addc_u32 s23, s23, 0
	s_nop 0
	v_subb_co_u32_e32 v1, vcc, v11, v1, vcc
	s_add_u32 s16, s16, 8
	s_waitcnt lgkmcnt(0)
	v_mul_lo_u32 v10, s2, v1
	v_mul_lo_u32 v11, s3, v7
	v_mad_u64_u32 v[8:9], s[2:3], s2, v7, v[8:9]
	s_addc_u32 s17, s17, 0
	v_add3_u32 v9, v11, v9, v10
	v_mul_lo_u32 v1, s24, v1
	v_mul_lo_u32 v10, s25, v7
	v_mad_u64_u32 v[2:3], s[2:3], s24, v7, v[2:3]
	s_add_u32 s18, s18, 8
	v_add3_u32 v3, v10, v3, v1
	s_addc_u32 s19, s19, 0
	v_mov_b64_e32 v[10:11], s[10:11]
	s_add_u32 s20, s20, 8
	v_cmp_ge_u64_e32 vcc, s[22:23], v[10:11]
	s_addc_u32 s21, s21, 0
	s_cbranch_vccnz .LBB0_9
; %bb.7:                                ;   in Loop: Header=BB0_2 Depth=1
	v_mov_b64_e32 v[10:11], v[4:5]
	s_branch .LBB0_2
.LBB0_8:
	v_mov_b64_e32 v[2:3], v[8:9]
	v_mov_b64_e32 v[4:5], v[10:11]
.LBB0_9:
	s_load_dwordx2 s[2:3], s[0:1], 0x28
	s_lshl_b64 s[16:17], s[10:11], 3
	s_add_u32 s10, s14, s16
	s_addc_u32 s11, s15, s17
                                        ; implicit-def: $vgpr6
	s_waitcnt lgkmcnt(0)
	v_cmp_gt_u64_e64 s[0:1], s[2:3], v[4:5]
	v_cmp_le_u64_e32 vcc, s[2:3], v[4:5]
	s_and_saveexec_b64 s[2:3], vcc
	s_xor_b64 s[2:3], exec, s[2:3]
; %bb.10:
	s_mov_b32 s14, 0x11bb4a5
	v_mul_hi_u32 v1, v0, s14
	v_mul_u32_u24_e32 v1, 0xe7, v1
	v_sub_u32_e32 v6, v0, v1
                                        ; implicit-def: $vgpr0
                                        ; implicit-def: $vgpr8_vgpr9
; %bb.11:
	s_or_saveexec_b64 s[2:3], s[2:3]
	s_load_dwordx2 s[10:11], s[10:11], 0x0
                                        ; implicit-def: $vgpr12
                                        ; implicit-def: $vgpr10
                                        ; implicit-def: $vgpr34
                                        ; implicit-def: $vgpr30
                                        ; implicit-def: $vgpr24
                                        ; implicit-def: $vgpr32
                                        ; implicit-def: $vgpr21
                                        ; implicit-def: $vgpr28
                                        ; implicit-def: $vgpr22
                                        ; implicit-def: $vgpr1
                                        ; implicit-def: $vgpr26
                                        ; implicit-def: $vgpr39
                                        ; implicit-def: $vgpr18
	s_xor_b64 exec, exec, s[2:3]
	s_cbranch_execz .LBB0_15
; %bb.12:
	s_add_u32 s12, s12, s16
	s_addc_u32 s13, s13, s17
	s_load_dwordx2 s[12:13], s[12:13], 0x0
	s_mov_b32 s14, 0x11bb4a5
                                        ; implicit-def: $vgpr28
                                        ; implicit-def: $vgpr21
                                        ; implicit-def: $vgpr32
                                        ; implicit-def: $vgpr24
                                        ; implicit-def: $vgpr31
	s_waitcnt lgkmcnt(0)
	v_mul_lo_u32 v1, s13, v4
	v_mul_lo_u32 v6, s12, v5
	v_mad_u64_u32 v[10:11], s[12:13], s12, v4, 0
	v_add3_u32 v11, v11, v6, v1
	v_mul_hi_u32 v1, v0, s14
	v_mul_u32_u24_e32 v1, 0xe7, v1
	v_sub_u32_e32 v6, v0, v1
	v_lshl_add_u64 v[0:1], v[10:11], 3, s[4:5]
	v_lshl_add_u64 v[0:1], v[8:9], 3, v[0:1]
	v_lshlrev_b32_e32 v8, 3, v6
	v_mov_b32_e32 v9, 0
	v_lshl_add_u64 v[0:1], v[0:1], 0, v[8:9]
	s_movk_i32 s4, 0x1000
	v_add_co_u32_e32 v14, vcc, s4, v0
	global_load_dwordx2 v[12:13], v[0:1], off
	s_nop 0
	v_addc_co_u32_e32 v15, vcc, 0, v1, vcc
	v_add_co_u32_e32 v16, vcc, 0x2000, v0
	s_movk_i32 s4, 0x9a
	s_nop 0
	v_addc_co_u32_e32 v17, vcc, 0, v1, vcc
	global_load_dwordx2 v[18:19], v[14:15], off offset:2680
	global_load_dwordx2 v[22:23], v[14:15], off offset:832
	;; [unrolled: 1-line block ×5, first 2 shown]
	v_cmp_gt_u32_e32 vcc, s4, v6
	s_and_saveexec_b64 s[4:5], vcc
	s_cbranch_execz .LBB0_14
; %bb.13:
	v_add_co_u32_e32 v14, vcc, 0x2000, v0
	s_nop 1
	v_addc_co_u32_e32 v15, vcc, 0, v1, vcc
	v_add_co_u32_e32 v16, vcc, 0x3000, v0
	s_nop 1
	v_addc_co_u32_e32 v17, vcc, 0, v1, vcc
	global_load_dwordx2 v[20:21], v[16:17], off offset:1264
	global_load_dwordx2 v[24:25], v[14:15], off offset:432
	;; [unrolled: 1-line block ×3, first 2 shown]
	s_waitcnt vmcnt(2)
	v_mov_b32_e32 v28, v21
	v_mov_b32_e32 v21, v20
	s_waitcnt vmcnt(1)
	v_mov_b32_e32 v32, v25
.LBB0_14:
	s_or_b64 exec, exec, s[4:5]
	s_waitcnt vmcnt(2)
	v_mov_b32_e32 v34, v11
	v_mov_b32_e32 v35, v13
	v_mov_b32_e32 v1, v23
	s_waitcnt vmcnt(1)
	v_mov_b32_e32 v39, v27
	v_mov_b32_e32 v33, v19
	s_waitcnt vmcnt(0)
	v_mov_b32_e32 v20, v8
	v_mov_b32_e32 v29, v9
.LBB0_15:
	s_or_b64 exec, exec, s[2:3]
	v_add_f32_e32 v0, v26, v22
	v_mul_f32_e32 v23, 0.5, v0
	v_sub_f32_e32 v0, v1, v39
	v_pk_add_f32 v[8:9], v[12:13], v[22:23]
	v_pk_add_f32 v[12:13], v[12:13], v[22:23] op_sel_hi:[0,1] neg_lo:[0,1] neg_hi:[0,1]
	v_mul_f32_e32 v27, 0x3f5db3d7, v0
	v_mov_b32_e32 v9, v13
	v_mov_b32_e32 v11, v30
	v_mov_b32_e32 v19, v24
	v_pk_add_f32 v[14:15], v[8:9], v[26:27]
	v_pk_add_f32 v[8:9], v[10:11], v[18:19]
	v_mov_b32_e32 v25, v18
	v_pk_add_f32 v[16:17], v[8:9], v[20:21]
	v_mov_b32_e32 v8, v21
	v_mov_b32_e32 v9, v20
	v_pk_add_f32 v[18:19], v[24:25], v[8:9]
	v_mov_b32_e32 v20, v30
	v_mov_b32_e32 v21, v10
	s_mov_b32 s2, 0x3f5db3d7
	v_pk_fma_f32 v[20:21], -0.5, v[18:19], v[20:21] op_sel_hi:[0,1,1]
	v_pk_add_f32 v[18:19], v[32:33], v[28:29] neg_lo:[0,1] neg_hi:[0,1]
	v_mov_b32_e32 v10, v13
	v_pk_mul_f32 v[36:37], v[18:19], s[2:3] op_sel_hi:[1,0]
	v_mov_b32_e32 v11, v21
	v_mov_b32_e32 v12, v27
	;; [unrolled: 1-line block ×3, first 2 shown]
	v_pk_fma_f32 v[18:19], v[18:19], s[2:3], v[20:21] op_sel_hi:[1,0,1]
	v_mad_u32_u24 v7, v6, 12, 0
	s_movk_i32 s2, 0x99
	s_movk_i32 s4, 0x9a
	v_pk_add_f32 v[10:11], v[10:11], v[12:13] neg_lo:[0,1] neg_hi:[0,1]
	v_sub_f32_e32 v12, v20, v36
	v_add_u32_e32 v20, 0xad4, v7
	v_cmp_lt_u32_e64 s[2:3], s2, v6
	v_cmp_gt_u32_e32 vcc, s4, v6
	ds_write2_b32 v7, v14, v15 offset1:1
	ds_write_b32 v7, v10 offset:8
	v_mov_b32_e32 v0, v16
	v_mov_b32_e32 v13, v19
	ds_write2_b32 v20, v16, v19 offset1:1
	ds_write_b32 v7, v11 offset:2780
	s_and_saveexec_b64 s[4:5], vcc
	s_cbranch_execz .LBB0_17
; %bb.16:
	v_add_u32_e32 v20, 0x15a8, v7
	v_mov_b32_e32 v0, v17
	v_mov_b32_e32 v13, v18
	ds_write2_b32 v20, v17, v18 offset1:1
	ds_write_b32 v7, v12 offset:5552
.LBB0_17:
	s_or_b64 exec, exec, s[4:5]
	s_movk_i32 s4, 0xa7
	v_cmp_lt_u32_e32 vcc, s4, v6
	s_waitcnt lgkmcnt(0)
	s_barrier
	s_waitcnt lgkmcnt(0)
                                        ; implicit-def: $vgpr20_vgpr21
	s_and_saveexec_b64 s[4:5], vcc
	s_xor_b64 s[4:5], exec, s[4:5]
; %bb.18:
	v_mov_b64_e32 v[20:21], v[18:19]
; %bb.19:
	s_or_saveexec_b64 s[4:5], s[4:5]
	v_mov_b32_e32 v36, v24
	v_mov_b32_e32 v37, v32
	v_lshlrev_b32_e32 v40, 3, v6
                                        ; implicit-def: $vgpr38
	s_xor_b64 exec, exec, s[4:5]
	s_cbranch_execz .LBB0_21
; %bb.20:
	v_sub_u32_e32 v0, v7, v40
	v_add_u32_e32 v10, 0x400, v0
	v_add_u32_e32 v12, 0xa00, v0
	;; [unrolled: 1-line block ×3, first 2 shown]
	ds_read2_b32 v[14:15], v0 offset1:168
	ds_read2_b32 v[10:11], v10 offset0:80 offset1:248
	ds_read2_b32 v[42:43], v13 offset0:48 offset1:216
	ds_read2_b32 v[44:45], v12 offset0:32 offset1:200
	v_add_u32_e32 v12, 0x1400, v0
	ds_read2_b32 v[12:13], v12 offset0:64 offset1:232
	ds_read_b32 v38, v0 offset:6720
	s_waitcnt lgkmcnt(3)
	v_mov_b32_e32 v20, v43
	s_waitcnt lgkmcnt(2)
	v_mov_b32_e32 v21, v44
	v_mov_b32_e32 v18, v43
	;; [unrolled: 1-line block ×6, first 2 shown]
.LBB0_21:
	s_or_b64 exec, exec, s[4:5]
	v_pk_add_f32 v[42:43], v[0:1], v[34:35]
	v_add_f32_e32 v0, v39, v1
	v_mul_f32_e32 v1, 0.5, v0
	v_sub_f32_e32 v23, v22, v26
	v_mov_b32_e32 v22, v33
	v_mov_b32_e32 v0, v33
	v_pk_add_f32 v[44:45], v[22:23], v[34:35]
	v_pk_add_f32 v[0:1], v[34:35], v[0:1] neg_lo:[0,1] neg_hi:[0,1]
	s_mov_b32 s4, 0x3f5db3d7
	v_mul_f32_e32 v27, 0x3f5db3d7, v23
	v_mov_b32_e32 v45, v1
	v_fmamk_f32 v23, v23, 0xbf5db3d7, v1
	v_pk_add_f32 v[0:1], v[30:31], v[36:37]
	v_pk_add_f32 v[32:33], v[32:33], v[28:29]
	v_mov_b32_e32 v30, v31
	v_mov_b32_e32 v31, v34
	v_pk_add_f32 v[8:9], v[24:25], v[8:9] neg_lo:[0,1] neg_hi:[0,1]
	v_pk_fma_f32 v[30:31], -0.5, v[32:33], v[30:31] op_sel_hi:[0,1,1]
	v_pk_mul_f32 v[32:33], v[8:9], s[4:5] op_sel_hi:[1,0]
	v_mov_b32_e32 v26, v29
	v_mov_b32_e32 v0, v1
	;; [unrolled: 1-line block ×4, first 2 shown]
	v_pk_add_f32 v[24:25], v[0:1], v[28:29]
	v_pk_fma_f32 v[28:29], v[8:9], s[4:5], v[30:31] op_sel_hi:[1,0,1] neg_lo:[1,0,0] neg_hi:[1,0,0]
	v_mov_b32_e32 v33, v43
	v_mov_b32_e32 v31, v39
	v_pk_add_f32 v[26:27], v[44:45], v[26:27]
	v_pk_add_f32 v[0:1], v[32:33], v[30:31]
	v_add_u32_e32 v22, 0xad4, v7
	s_waitcnt lgkmcnt(0)
	s_barrier
	ds_write2_b32 v7, v1, v23 offset1:1
	ds_write_b32 v7, v27 offset:8
	ds_write2_b32 v22, v26, v29 offset1:1
	ds_write_b32 v7, v25 offset:2780
	s_and_saveexec_b64 s[4:5], s[2:3]
	s_xor_b64 s[2:3], exec, s[4:5]
	s_andn2_saveexec_b64 s[2:3], s[2:3]
	s_cbranch_execz .LBB0_23
; %bb.22:
	v_add_u32_e32 v22, 0x15a8, v7
	ds_write2_b32 v22, v24, v28 offset1:1
	ds_write_b32 v7, v0 offset:5552
.LBB0_23:
	s_or_b64 exec, exec, s[2:3]
	s_waitcnt lgkmcnt(0)
	s_barrier
	s_waitcnt lgkmcnt(0)
                                        ; implicit-def: $vgpr30_vgpr31
                                        ; implicit-def: $vgpr8_vgpr9
	s_and_saveexec_b64 s[2:3], vcc
	s_xor_b64 s[2:3], exec, s[2:3]
; %bb.24:
	v_mov_b64_e32 v[30:31], v[28:29]
	v_mov_b64_e32 v[8:9], v[0:1]
                                        ; implicit-def: $vgpr7
                                        ; implicit-def: $vgpr40
; %bb.25:
	s_or_saveexec_b64 s[2:3], s[2:3]
                                        ; implicit-def: $vgpr33
                                        ; implicit-def: $vgpr34
	s_xor_b64 exec, exec, s[2:3]
	s_cbranch_execz .LBB0_27
; %bb.26:
	v_sub_u32_e32 v0, v7, v40
	v_add_u32_e32 v1, 0x400, v0
	v_add_u32_e32 v7, 0x1400, v0
	ds_read2_b32 v[22:23], v0 offset1:168
	ds_read2_b32 v[28:29], v1 offset0:80 offset1:248
	ds_read2_b32 v[32:33], v7 offset0:64 offset1:232
	v_add_u32_e32 v7, 0xf00, v0
	v_add_u32_e32 v1, 0xa00, v0
	ds_read2_b32 v[36:37], v7 offset0:48 offset1:216
	ds_read2_b32 v[40:41], v1 offset0:32 offset1:200
	ds_read_b32 v34, v0 offset:6720
	s_waitcnt lgkmcnt(5)
	v_mov_b32_e32 v9, v22
	s_waitcnt lgkmcnt(3)
	v_mov_b32_e32 v8, v32
	;; [unrolled: 2-line block ×4, first 2 shown]
	v_mov_b32_e32 v1, v22
	v_mov_b32_e32 v25, v41
	;; [unrolled: 1-line block ×8, first 2 shown]
.LBB0_27:
	s_or_b64 exec, exec, s[2:3]
	s_movk_i32 s2, 0xab
	v_mul_lo_u16_sdwa v7, v6, s2 dst_sel:DWORD dst_unused:UNUSED_PAD src0_sel:BYTE_0 src1_sel:DWORD
	v_lshrrev_b16_e32 v7, 9, v7
	v_mul_lo_u16_e32 v22, 3, v7
	v_sub_u16_e32 v58, v6, v22
	v_mov_b32_e32 v22, 10
	v_mul_u32_u24_sdwa v22, v58, v22 dst_sel:DWORD dst_unused:UNUSED_PAD src0_sel:BYTE_0 src1_sel:DWORD
	v_lshlrev_b32_e32 v22, 3, v22
	global_load_dwordx4 v[40:43], v22, s[8:9]
	global_load_dwordx4 v[46:49], v22, s[8:9] offset:16
	global_load_dwordx4 v[50:53], v22, s[8:9] offset:32
	global_load_dwordx4 v[54:57], v22, s[8:9] offset:48
	global_load_dwordx4 v[70:73], v22, s[8:9] offset:64
	s_mov_b32 s2, 0x3ed4b147
	s_mov_b32 s27, 0xbf0a6770
	;; [unrolled: 1-line block ×26, first 2 shown]
	s_waitcnt lgkmcnt(0)
	s_barrier
	s_waitcnt vmcnt(4)
	v_mul_f32_e32 v59, v15, v41
	v_mul_f32_e32 v22, v23, v41
	;; [unrolled: 1-line block ×4, first 2 shown]
	s_waitcnt vmcnt(0)
	v_mul_f32_e32 v68, v38, v73
	v_mul_f32_e32 v35, v26, v47
	;; [unrolled: 1-line block ×7, first 2 shown]
	v_fmac_f32_e32 v59, v23, v40
	v_fmac_f32_e32 v68, v34, v72
	v_mul_f32_e32 v61, v16, v47
	v_mul_f32_e32 v19, v25, v51
	;; [unrolled: 1-line block ×3, first 2 shown]
	v_mov_b32_e32 v37, v48
	v_mul_f32_e32 v65, v18, v55
	v_mul_f32_e32 v18, v0, v57
	;; [unrolled: 1-line block ×4, first 2 shown]
	v_fma_f32 v45, v15, v40, -v22
	v_fma_f32 v41, v10, v42, -v32
	v_fmac_f32_e32 v60, v27, v42
	v_fma_f32 v43, v16, v46, -v35
	v_fmac_f32_e32 v62, v29, v48
	v_mov_b32_e32 v48, v55
	v_fmac_f32_e32 v67, v33, v70
	v_fma_f32 v77, v38, v72, -v53
	v_sub_f32_e32 v42, v59, v68
	v_mov_b32_e32 v36, v54
	v_fmac_f32_e32 v61, v26, v46
	v_fma_f32 v39, v11, v50, -v19
	v_fma_f32 v47, v17, v52, -v44
	v_fmac_f32_e32 v65, v28, v54
	v_fma_f32 v75, v12, v56, -v18
	v_fmac_f32_e32 v66, v0, v56
	v_fma_f32 v76, v13, v70, -v51
	v_pk_mul_f32 v[10:11], v[30:31], v[48:49]
	v_add_f32_e32 v28, v45, v77
	v_sub_f32_e32 v44, v60, v67
	v_pk_mul_f32 v[18:19], v[42:43], s[26:27] op_sel_hi:[0,1]
	v_add_f32_e32 v30, v41, v76
	v_sub_f32_e32 v46, v61, v66
	v_pk_fma_f32 v[16:17], v[20:21], v[36:37], v[10:11] neg_lo:[0,0,1] neg_hi:[0,0,1]
	v_pk_mul_f32 v[20:21], v[44:45], s[28:29] op_sel_hi:[0,1]
	v_pk_fma_f32 v[10:11], v[28:29], s[2:3], v[18:19] op_sel_hi:[0,1,1]
	v_fmac_f32_e32 v63, v25, v50
	v_fmac_f32_e32 v64, v24, v52
	v_add_f32_e32 v32, v43, v75
	v_sub_f32_e32 v38, v62, v65
	v_pk_mul_f32 v[22:23], v[46:47], s[22:23] op_sel_hi:[0,1]
	v_mov_b32_e32 v0, v17
	v_pk_fma_f32 v[12:13], v[30:31], s[4:5], v[20:21] op_sel_hi:[0,1,1]
	v_pk_add_f32 v[10:11], v[14:15], v[10:11] op_sel_hi:[0,1]
	v_sub_f32_e32 v40, v63, v64
	v_pk_mul_f32 v[24:25], v[38:39], s[24:25] op_sel_hi:[0,1]
	v_pk_fma_f32 v[34:35], v[32:33], s[12:13], v[22:23] op_sel_hi:[0,1,1]
	v_pk_add_f32 v[36:37], v[0:1], v[16:17]
	v_pk_add_f32 v[10:11], v[12:13], v[10:11]
	v_add_f32_e32 v26, v39, v47
	v_pk_fma_f32 v[12:13], v[36:37], s[14:15], v[24:25] op_sel_hi:[0,1,1]
	v_pk_add_f32 v[10:11], v[34:35], v[10:11]
	v_pk_mul_f32 v[34:35], v[40:41], s[30:31] op_sel_hi:[0,1]
	s_mov_b32 s29, s23
	v_pk_add_f32 v[10:11], v[12:13], v[10:11]
	v_pk_fma_f32 v[12:13], v[26:27], s[16:17], v[34:35] op_sel_hi:[0,1,1]
	v_pk_mul_f32 v[48:49], v[42:43], s[28:29] op_sel_hi:[0,1]
	s_mov_b32 s25, s22
	v_pk_add_f32 v[12:13], v[12:13], v[10:11]
	v_pk_fma_f32 v[10:11], v[28:29], s[20:21], v[48:49] op_sel_hi:[0,1,1]
	v_pk_mul_f32 v[50:51], v[44:45], s[24:25] op_sel_hi:[0,1]
	v_pk_add_f32 v[10:11], v[14:15], v[10:11] op_sel_hi:[0,1]
	v_pk_fma_f32 v[52:53], v[30:31], s[18:19], v[50:51] op_sel_hi:[0,1,1]
	v_pk_add_f32 v[10:11], v[52:53], v[10:11]
	s_mov_b32 s22, s3
	s_mov_b32 s23, s2
	v_pk_mul_f32 v[52:53], v[46:47], s[34:35] op_sel_hi:[0,1]
	v_pk_fma_f32 v[54:55], v[32:33], s[22:23], v[52:53] op_sel_hi:[0,1,1]
	s_mov_b32 s26, s31
	v_pk_add_f32 v[10:11], v[54:55], v[10:11]
	s_mov_b32 s24, s12
	s_mov_b32 s25, s3
	v_pk_mul_f32 v[54:55], v[38:39], s[26:27] op_sel_hi:[0,1]
	v_pk_fma_f32 v[56:57], v[36:37], s[24:25], v[54:55] op_sel_hi:[0,1,1]
	s_mov_b32 s30, s35
	s_mov_b32 s31, s28
	v_pk_add_f32 v[10:11], v[56:57], v[10:11]
	s_mov_b32 s26, s2
	s_mov_b32 s27, s4
	v_pk_mul_f32 v[56:57], v[40:41], s[30:31] op_sel_hi:[0,1]
	v_pk_fma_f32 v[70:71], v[26:27], s[26:27], v[56:57] op_sel_hi:[0,1,1]
	v_pk_add_f32 v[10:11], v[70:71], v[10:11]
	s_and_saveexec_b64 s[28:29], vcc
	s_xor_b64 s[28:29], exec, s[28:29]
; %bb.28:
                                        ; implicit-def: $vgpr14_vgpr15
                                        ; implicit-def: $vgpr28
                                        ; implicit-def: $vgpr42
                                        ; implicit-def: $vgpr30
                                        ; implicit-def: $vgpr44
                                        ; implicit-def: $vgpr32
                                        ; implicit-def: $vgpr46
                                        ; implicit-def: $vgpr36_vgpr37
                                        ; implicit-def: $vgpr38
                                        ; implicit-def: $vgpr26
                                        ; implicit-def: $vgpr40
                                        ; implicit-def: $vgpr18_vgpr19
                                        ; implicit-def: $vgpr20_vgpr21
                                        ; implicit-def: $vgpr22_vgpr23
                                        ; implicit-def: $vgpr24_vgpr25
                                        ; implicit-def: $vgpr34_vgpr35
                                        ; implicit-def: $vgpr48_vgpr49
                                        ; implicit-def: $vgpr50_vgpr51
                                        ; implicit-def: $vgpr52_vgpr53
                                        ; implicit-def: $vgpr54_vgpr55
                                        ; implicit-def: $vgpr56_vgpr57
; %bb.29:
	s_andn2_saveexec_b64 s[28:29], s[28:29]
	s_cbranch_execz .LBB0_31
; %bb.30:
	v_mul_f32_e32 v15, 0xbe903f40, v42
	v_fmamk_f32 v42, v28, 0xbf75a155, v15
	v_mul_f32_e32 v44, 0x3f0a6770, v44
	v_pk_mul_f32 v[70:71], v[28:29], s[2:3] op_sel_hi:[0,1]
	v_add_f32_e32 v42, v14, v42
	v_fmamk_f32 v69, v30, 0x3f575c64, v44
	v_mul_f32_e32 v46, 0xbf4178ce, v46
	s_mov_b32 s2, 0xbf75a155
	v_add_f32_e32 v42, v69, v42
	v_fmamk_f32 v69, v32, 0xbf27a4f4, v46
	v_mul_f32_e32 v38, 0x3f68dda4, v38
	v_fma_f32 v15, v28, s2, -v15
	s_mov_b32 s2, 0x3f575c64
	v_add_f32_e32 v42, v69, v42
	v_pk_mul_f32 v[84:85], v[28:29], s[20:21] op_sel_hi:[0,1]
	v_fmamk_f32 v29, v36, 0x3ed4b147, v38
	v_mul_f32_e32 v40, 0xbf7d64f0, v40
	v_fma_f32 v44, v30, s2, -v44
	s_mov_b32 s2, 0xbf27a4f4
	v_add_f32_e32 v15, v14, v15
	v_pk_mul_f32 v[72:73], v[30:31], s[4:5] op_sel_hi:[0,1]
	v_pk_mul_f32 v[80:81], v[36:37], s[14:15] op_sel_hi:[0,1]
	v_add_f32_e32 v29, v29, v42
	v_fmamk_f32 v42, v26, 0xbe11bafb, v40
	v_pk_mul_f32 v[86:87], v[30:31], s[18:19] op_sel_hi:[0,1]
	v_pk_mul_f32 v[30:31], v[36:37], s[24:25] op_sel_hi:[0,1]
	v_fma_f32 v37, v32, s2, -v46
	s_mov_b32 s2, 0x3ed4b147
	v_add_f32_e32 v15, v44, v15
	v_pk_mul_f32 v[78:79], v[32:33], s[12:13] op_sel_hi:[0,1]
	v_pk_mul_f32 v[82:83], v[26:27], s[16:17] op_sel_hi:[0,1]
	v_add_f32_e32 v42, v42, v29
	v_pk_mul_f32 v[28:29], v[32:33], s[22:23] op_sel_hi:[0,1]
	v_pk_mul_f32 v[32:33], v[26:27], s[26:27] op_sel_hi:[0,1]
	s_mov_b32 s3, 0xbe11bafb
	v_add_f32_e32 v15, v37, v15
	v_fma_f32 v27, v36, s2, -v38
	v_add_f32_e32 v15, v27, v15
	v_fma_f32 v26, v26, s3, -v40
	v_add_f32_e32 v15, v26, v15
	v_pk_add_f32 v[26:27], v[84:85], v[48:49] neg_lo:[0,1] neg_hi:[0,1]
	v_pk_add_f32 v[36:37], v[86:87], v[50:51] neg_lo:[0,1] neg_hi:[0,1]
	v_add_f32_e32 v26, v14, v26
	v_pk_add_f32 v[28:29], v[28:29], v[52:53] neg_lo:[0,1] neg_hi:[0,1]
	v_add_f32_e32 v26, v36, v26
	;; [unrolled: 2-line block ×5, first 2 shown]
	v_add_f32_e32 v26, v14, v27
	v_add_f32_e32 v18, v14, v18
	;; [unrolled: 1-line block ×9, first 2 shown]
	v_pk_add_f32 v[20:21], v[72:73], v[20:21] neg_lo:[0,1] neg_hi:[0,1]
	v_add_f32_e32 v14, v14, v47
	v_add_f32_e32 v26, v29, v26
	v_pk_add_f32 v[22:23], v[78:79], v[22:23] neg_lo:[0,1] neg_hi:[0,1]
	v_add_f32_e32 v19, v21, v19
	v_add_f32_e32 v14, v14, v16
	v_add_f32_e32 v26, v31, v26
	v_pk_add_f32 v[24:25], v[80:81], v[24:25] neg_lo:[0,1] neg_hi:[0,1]
	v_add_f32_e32 v18, v20, v18
	v_add_f32_e32 v19, v23, v19
	;; [unrolled: 1-line block ×3, first 2 shown]
	v_mov_b32_e32 v21, 2
	v_add_f32_e32 v29, v33, v26
	v_pk_add_f32 v[26:27], v[82:83], v[34:35] neg_lo:[0,1] neg_hi:[0,1]
	v_add_f32_e32 v18, v22, v18
	v_add_f32_e32 v19, v25, v19
	;; [unrolled: 1-line block ×3, first 2 shown]
	v_mul_u32_u24_e32 v20, 0x84, v7
	v_lshlrev_b32_sdwa v21, v21, v58 dst_sel:DWORD dst_unused:UNUSED_PAD src0_sel:DWORD src1_sel:BYTE_0
	v_add_f32_e32 v18, v24, v18
	v_add_f32_e32 v19, v27, v19
	;; [unrolled: 1-line block ×3, first 2 shown]
	v_add3_u32 v20, 0, v20, v21
	v_add_f32_e32 v18, v26, v18
	ds_write2_b32 v20, v14, v19 offset1:3
	ds_write2_b32 v20, v18, v29 offset0:6 offset1:9
	ds_write2_b32 v20, v28, v15 offset0:12 offset1:15
	;; [unrolled: 1-line block ×4, first 2 shown]
	ds_write_b32 v20, v13 offset:120
.LBB0_31:
	s_or_b64 exec, exec, s[28:29]
	v_lshl_add_u32 v31, v6, 2, 0
	s_waitcnt lgkmcnt(0)
	s_barrier
	ds_read_b32 v33, v31
	ds_read_b32 v74, v31 offset:1056
	ds_read_b32 v73, v31 offset:2112
	;; [unrolled: 1-line block ×6, first 2 shown]
	v_cmp_gt_u32_e64 s[2:3], 33, v6
                                        ; implicit-def: $vgpr56
                                        ; implicit-def: $vgpr35
                                        ; implicit-def: $vgpr69
	s_and_saveexec_b64 s[4:5], s[2:3]
	s_cbranch_execz .LBB0_33
; %bb.32:
	ds_read_b32 v10, v31 offset:924
	ds_read_b32 v11, v31 offset:1980
	;; [unrolled: 1-line block ×7, first 2 shown]
.LBB0_33:
	s_or_b64 exec, exec, s[4:5]
	v_sub_f32_e32 v34, v45, v77
	s_mov_b32 s4, 0x3f575c64
	s_mov_b32 s27, 0xbf7d64f0
	s_mov_b32 s26, 0xbf0a6770
	s_mov_b32 s28, 0xbf68dda4
	v_add_f32_e32 v28, v59, v68
	v_sub_f32_e32 v32, v41, v76
	s_mov_b32 s5, 0xbe11bafb
	s_waitcnt lgkmcnt(0)
	v_pk_mul_f32 v[36:37], v[34:35], s[26:27] op_sel_hi:[0,1]
	s_mov_b32 s12, 0x3ed4b147
	s_mov_b32 s29, 0x3e903f40
	v_add_f32_e32 v24, v60, v67
	v_sub_f32_e32 v30, v43, v75
	v_pk_add_f32 v[26:27], v[0:1], v[16:17] neg_lo:[0,1] neg_hi:[0,1]
	v_sub_f32_e32 v0, v39, v47
	v_pk_fma_f32 v[14:15], v[28:29], s[4:5], v[36:37] op_sel_hi:[0,1,1] neg_lo:[0,0,1] neg_hi:[0,0,1]
	s_mov_b32 s13, 0xbf75a155
	v_pk_mul_f32 v[38:39], v[32:33], s[28:29] op_sel_hi:[0,1]
	s_mov_b32 s31, 0x3f68dda4
	s_mov_b32 s30, s27
	v_add_f32_e32 v22, v61, v66
	v_pk_add_f32 v[14:15], v[8:9], v[14:15] op_sel:[1,0]
	v_pk_fma_f32 v[16:17], v[24:25], s[12:13], v[38:39] op_sel_hi:[0,1,1] neg_lo:[0,0,1] neg_hi:[0,0,1]
	s_mov_b32 s14, s5
	s_mov_b32 s15, s12
	v_pk_mul_f32 v[40:41], v[30:31], s[30:31] op_sel_hi:[0,1]
	s_mov_b32 s24, 0xbf4178ce
	s_mov_b32 s25, s26
	v_add_f32_e32 v20, v62, v65
	v_pk_add_f32 v[14:15], v[16:17], v[14:15]
	v_pk_fma_f32 v[16:17], v[22:23], s[14:15], v[40:41] op_sel_hi:[0,1,1] neg_lo:[0,0,1] neg_hi:[0,0,1]
	s_mov_b32 s16, 0xbf27a4f4
	s_mov_b32 s17, s4
	v_pk_mul_f32 v[42:43], v[26:27], s[24:25] op_sel_hi:[0,1]
	s_mov_b32 s34, 0xbe903f40
	s_mov_b32 s35, s24
	v_add_f32_e32 v18, v63, v64
	v_pk_add_f32 v[14:15], v[16:17], v[14:15]
	v_pk_fma_f32 v[16:17], v[20:21], s[16:17], v[42:43] op_sel_hi:[0,1,1] neg_lo:[0,0,1] neg_hi:[0,0,1]
	s_mov_b32 s18, s13
	s_mov_b32 s19, s16
	v_pk_mul_f32 v[46:47], v[0:1], s[34:35] op_sel_hi:[0,1]
	s_mov_b32 s25, s28
	v_pk_add_f32 v[14:15], v[16:17], v[14:15]
	v_pk_fma_f32 v[16:17], v[18:19], s[18:19], v[46:47] op_sel_hi:[0,1,1] neg_lo:[0,0,1] neg_hi:[0,0,1]
	s_mov_b32 s20, s16
	s_mov_b32 s21, s12
	v_pk_mul_f32 v[44:45], v[34:35], s[24:25] op_sel_hi:[0,1]
	s_mov_b32 s36, 0x3f7d64f0
	s_mov_b32 s37, s24
	v_pk_add_f32 v[16:17], v[16:17], v[14:15]
	v_pk_fma_f32 v[14:15], v[28:29], s[20:21], v[44:45] op_sel_hi:[0,1,1] neg_lo:[0,0,1] neg_hi:[0,0,1]
	s_mov_b32 s22, s5
	s_mov_b32 s23, s16
	v_pk_mul_f32 v[48:49], v[32:33], s[36:37] op_sel_hi:[0,1]
	v_pk_add_f32 v[14:15], v[8:9], v[14:15] op_sel:[1,0]
	v_pk_fma_f32 v[50:51], v[24:25], s[22:23], v[48:49] op_sel_hi:[0,1,1] neg_lo:[0,0,1] neg_hi:[0,0,1]
	s_mov_b32 s27, s29
	v_pk_add_f32 v[14:15], v[50:51], v[14:15]
	s_mov_b32 s24, s4
	s_mov_b32 s25, s13
	v_pk_mul_f32 v[50:51], v[30:31], s[26:27] op_sel_hi:[0,1]
	v_pk_fma_f32 v[52:53], v[22:23], s[24:25], v[50:51] op_sel_hi:[0,1,1] neg_lo:[0,0,1] neg_hi:[0,0,1]
	s_mov_b32 s35, s36
	v_pk_add_f32 v[14:15], v[52:53], v[14:15]
	s_mov_b32 s26, s13
	s_mov_b32 s27, s5
	v_pk_mul_f32 v[52:53], v[26:27], s[34:35] op_sel_hi:[0,1]
	v_pk_fma_f32 v[54:55], v[20:21], s[26:27], v[52:53] op_sel_hi:[0,1,1] neg_lo:[0,0,1] neg_hi:[0,0,1]
	s_mov_b32 s35, 0x3f0a6770
	s_mov_b32 s34, s31
	v_pk_add_f32 v[14:15], v[54:55], v[14:15]
	s_mov_b32 s28, s12
	s_mov_b32 s29, s4
	v_pk_mul_f32 v[54:55], v[0:1], s[34:35] op_sel_hi:[0,1]
	v_pk_fma_f32 v[76:77], v[18:19], s[28:29], v[54:55] op_sel_hi:[0,1,1] neg_lo:[0,0,1] neg_hi:[0,0,1]
	v_pk_add_f32 v[14:15], v[76:77], v[14:15]
	s_barrier
	s_and_saveexec_b64 s[30:31], vcc
	s_xor_b64 s[30:31], exec, s[30:31]
; %bb.34:
                                        ; implicit-def: $vgpr8_vgpr9
                                        ; implicit-def: $vgpr1
                                        ; implicit-def: $vgpr7
                                        ; implicit-def: $vgpr59
                                        ; implicit-def: $vgpr60
                                        ; implicit-def: $vgpr61
                                        ; implicit-def: $vgpr62
                                        ; implicit-def: $vgpr63
                                        ; implicit-def: $vgpr64
                                        ; implicit-def: $vgpr65
                                        ; implicit-def: $vgpr66
                                        ; implicit-def: $vgpr67
                                        ; implicit-def: $vgpr68
                                        ; implicit-def: $vgpr28
                                        ; implicit-def: $vgpr34
                                        ; implicit-def: $vgpr24
                                        ; implicit-def: $vgpr32
                                        ; implicit-def: $vgpr22
                                        ; implicit-def: $vgpr30
                                        ; implicit-def: $vgpr20
                                        ; implicit-def: $vgpr26_vgpr27
                                        ; implicit-def: $vgpr18
                                        ; implicit-def: $vgpr0
                                        ; implicit-def: $vgpr36_vgpr37
                                        ; implicit-def: $vgpr38_vgpr39
                                        ; implicit-def: $vgpr40_vgpr41
                                        ; implicit-def: $vgpr42_vgpr43
                                        ; implicit-def: $vgpr46_vgpr47
                                        ; implicit-def: $vgpr44_vgpr45
                                        ; implicit-def: $vgpr48_vgpr49
                                        ; implicit-def: $vgpr50_vgpr51
                                        ; implicit-def: $vgpr52_vgpr53
                                        ; implicit-def: $vgpr54_vgpr55
                                        ; implicit-def: $vgpr58
; %bb.35:
	s_andn2_saveexec_b64 s[30:31], s[30:31]
	s_cbranch_execz .LBB0_37
; %bb.36:
	v_pk_mul_f32 v[76:77], v[28:29], s[4:5] op_sel_hi:[0,1]
	v_pk_mul_f32 v[84:85], v[18:19], s[18:19] op_sel_hi:[0,1]
	;; [unrolled: 1-line block ×3, first 2 shown]
	v_mul_f32_e32 v19, 0xbe903f40, v34
	s_mov_b32 s4, 0xbf75a155
	v_pk_mul_f32 v[82:83], v[20:21], s[16:17] op_sel_hi:[0,1]
	v_pk_mul_f32 v[92:93], v[20:21], s[26:27] op_sel_hi:[0,1]
	v_fmamk_f32 v21, v28, 0xbf75a155, v19
	v_fma_f32 v19, v28, s4, -v19
	v_add_f32_e32 v8, v1, v59
	v_add_f32_e32 v21, v1, v21
	v_add_f32_e32 v1, v1, v19
	v_mul_f32_e32 v19, 0x3f0a6770, v32
	s_mov_b32 s4, 0x3f575c64
	v_pk_mul_f32 v[80:81], v[22:23], s[14:15] op_sel_hi:[0,1]
	v_pk_mul_f32 v[90:91], v[22:23], s[24:25] op_sel_hi:[0,1]
	v_fmamk_f32 v23, v24, 0x3f575c64, v19
	v_fma_f32 v19, v24, s4, -v19
	v_add_f32_e32 v1, v19, v1
	v_mul_f32_e32 v19, 0xbf4178ce, v30
	s_mov_b32 s4, 0xbf27a4f4
	v_add_f32_e32 v21, v23, v21
	v_fmamk_f32 v23, v22, 0xbf27a4f4, v19
	v_fma_f32 v19, v22, s4, -v19
	v_add_f32_e32 v1, v19, v1
	v_mul_f32_e32 v19, 0x3f68dda4, v26
	v_add_f32_e32 v21, v23, v21
	s_mov_b32 s4, 0x3ed4b147
	v_fmamk_f32 v22, v20, 0x3ed4b147, v19
	v_pk_mul_f32 v[78:79], v[24:25], s[12:13] op_sel_hi:[0,1]
	v_add_f32_e32 v30, v22, v21
	v_fma_f32 v19, v20, s4, -v19
	v_pk_add_f32 v[20:21], v[36:37], v[76:77]
	v_add_f32_e32 v8, v8, v60
	v_add_f32_e32 v1, v19, v1
	v_pk_add_f32 v[22:23], v[38:39], v[78:79]
	v_add_f32_e32 v19, v9, v20
	v_add_f32_e32 v20, v9, v21
	v_pk_mul_f32 v[88:89], v[24:25], s[22:23] op_sel_hi:[0,1]
	v_add_f32_e32 v8, v8, v61
	v_pk_add_f32 v[24:25], v[40:41], v[80:81]
	v_add_f32_e32 v20, v23, v20
	v_add_f32_e32 v8, v8, v62
	v_pk_add_f32 v[26:27], v[42:43], v[82:83]
	v_add_f32_e32 v20, v25, v20
	v_pk_mul_f32 v[86:87], v[28:29], s[20:21] op_sel_hi:[0,1]
	v_add_f32_e32 v8, v8, v63
	v_pk_add_f32 v[28:29], v[46:47], v[84:85]
	v_add_f32_e32 v20, v27, v20
	v_add_f32_e32 v8, v8, v64
	;; [unrolled: 1-line block ×3, first 2 shown]
	v_pk_add_f32 v[20:21], v[44:45], v[86:87]
	v_mul_f32_e32 v0, 0xbf7d64f0, v0
	s_mov_b32 s4, 0xbe11bafb
	v_add_f32_e32 v8, v8, v65
	v_add_f32_e32 v19, v22, v19
	v_pk_add_f32 v[22:23], v[48:49], v[88:89]
	v_add_f32_e32 v21, v9, v21
	v_add_f32_e32 v9, v9, v20
	v_fmamk_f32 v20, v18, 0xbe11bafb, v0
	v_fma_f32 v0, v18, s4, -v0
	v_add_f32_e32 v8, v8, v66
	v_add_f32_e32 v19, v24, v19
	v_pk_add_f32 v[24:25], v[50:51], v[90:91]
	v_add_f32_e32 v21, v23, v21
	v_add_f32_e32 v9, v22, v9
	;; [unrolled: 1-line block ×3, first 2 shown]
	v_mul_u32_u24_e32 v1, 0x84, v7
	v_mov_b32_e32 v7, 2
	v_add_f32_e32 v8, v8, v67
	v_add_f32_e32 v19, v26, v19
	v_pk_add_f32 v[26:27], v[52:53], v[92:93]
	v_add_f32_e32 v21, v25, v21
	v_add_f32_e32 v9, v24, v9
	v_lshlrev_b32_sdwa v7, v7, v58 dst_sel:DWORD dst_unused:UNUSED_PAD src0_sel:DWORD src1_sel:BYTE_0
	v_add_f32_e32 v8, v8, v68
	v_add_f32_e32 v19, v28, v19
	v_pk_add_f32 v[28:29], v[54:55], v[94:95]
	v_add_f32_e32 v21, v27, v21
	v_add_f32_e32 v9, v26, v9
	v_add3_u32 v1, 0, v1, v7
	v_add_f32_e32 v21, v29, v21
	v_add_f32_e32 v9, v28, v9
	;; [unrolled: 1-line block ×3, first 2 shown]
	ds_write2_b32 v1, v8, v19 offset1:3
	ds_write2_b32 v1, v21, v32 offset0:6 offset1:9
	ds_write2_b32 v1, v9, v20 offset0:12 offset1:15
	;; [unrolled: 1-line block ×4, first 2 shown]
	ds_write_b32 v1, v16 offset:120
.LBB0_37:
	s_or_b64 exec, exec, s[30:31]
	s_waitcnt lgkmcnt(0)
	s_barrier
	ds_read_b32 v0, v31
	ds_read_b32 v28, v31 offset:1056
	ds_read_b32 v27, v31 offset:2112
	;; [unrolled: 1-line block ×6, first 2 shown]
                                        ; implicit-def: $vgpr7
                                        ; implicit-def: $vgpr1
                                        ; implicit-def: $vgpr8
	s_and_saveexec_b64 s[4:5], s[2:3]
	s_cbranch_execz .LBB0_39
; %bb.38:
	ds_read_b32 v14, v31 offset:924
	ds_read_b32 v17, v31 offset:1980
	;; [unrolled: 1-line block ×7, first 2 shown]
.LBB0_39:
	s_or_b64 exec, exec, s[4:5]
	s_movk_i32 s4, 0xf9
	v_mul_lo_u16_sdwa v18, v6, s4 dst_sel:DWORD dst_unused:UNUSED_PAD src0_sel:BYTE_0 src1_sel:DWORD
	v_lshrrev_b16_e32 v29, 13, v18
	v_add_u32_e32 v19, 0xe7, v6
	s_mov_b32 s4, 0xf83f
	v_mul_lo_u16_e32 v18, 33, v29
	v_mul_u32_u24_sdwa v20, v19, s4 dst_sel:DWORD dst_unused:UNUSED_PAD src0_sel:WORD_0 src1_sel:DWORD
	v_sub_u16_e32 v66, v6, v18
	v_mov_b32_e32 v18, 6
	v_lshrrev_b32_e32 v20, 21, v20
	v_mul_u32_u24_sdwa v18, v66, v18 dst_sel:DWORD dst_unused:UNUSED_PAD src0_sel:BYTE_0 src1_sel:DWORD
	v_mul_lo_u16_e32 v20, 33, v20
	v_lshlrev_b32_e32 v18, 3, v18
	v_sub_u16_e32 v67, v19, v20
	global_load_dwordx4 v[40:43], v18, s[8:9] offset:240
	global_load_dwordx4 v[44:47], v18, s[8:9] offset:256
	;; [unrolled: 1-line block ×3, first 2 shown]
	v_mul_u32_u24_e32 v18, 6, v67
	v_lshlrev_b32_e32 v18, 3, v18
	global_load_dwordx4 v[52:55], v18, s[8:9] offset:240
	global_load_dwordx4 v[58:61], v18, s[8:9] offset:256
	global_load_dwordx4 v[62:65], v18, s[8:9] offset:272
	s_mov_b32 s12, 0x3f5ff5aa
	s_mov_b32 s13, 0x3f3bfb3b
	;; [unrolled: 1-line block ×4, first 2 shown]
	s_waitcnt lgkmcnt(0)
	s_barrier
	s_waitcnt vmcnt(5)
	v_mul_f32_e32 v39, v28, v41
	v_mul_f32_e32 v30, v74, v41
	;; [unrolled: 1-line block ×4, first 2 shown]
	s_waitcnt vmcnt(4)
	v_mul_f32_e32 v43, v26, v45
	v_mul_f32_e32 v34, v72, v45
	;; [unrolled: 1-line block ×4, first 2 shown]
	s_waitcnt vmcnt(3)
	v_mul_f32_e32 v47, v24, v49
	v_mul_f32_e32 v37, v70, v49
	;; [unrolled: 1-line block ×3, first 2 shown]
	s_waitcnt vmcnt(0)
	v_mul_f32_e32 v22, v69, v63
	v_mul_f32_e32 v23, v35, v65
	v_fma_f32 v39, v74, v40, -v39
	v_fmac_f32_e32 v30, v28, v40
	v_fma_f32 v40, v73, v42, -v41
	v_fma_f32 v41, v72, v44, -v43
	v_fmac_f32_e32 v34, v26, v44
	v_fma_f32 v43, v70, v48, -v47
	v_fma_f32 v44, v57, v50, -v49
	v_mul_f32_e32 v38, v57, v51
	v_mul_f32_e32 v51, v17, v53
	;; [unrolled: 1-line block ×11, first 2 shown]
	v_fmac_f32_e32 v32, v27, v42
	v_fma_f32 v42, v71, v46, -v45
	v_fmac_f32_e32 v36, v25, v46
	v_fmac_f32_e32 v37, v24, v48
	;; [unrolled: 1-line block ×4, first 2 shown]
	v_add_f32_e32 v1, v39, v44
	v_add_f32_e32 v8, v40, v43
	v_fmac_f32_e32 v38, v9, v50
	v_fma_f32 v24, v11, v52, -v51
	v_fmac_f32_e32 v18, v17, v52
	v_fma_f32 v17, v12, v54, -v53
	v_fma_f32 v25, v13, v58, -v55
	v_sub_f32_e32 v9, v32, v37
	v_add_f32_e32 v11, v41, v42
	v_sub_f32_e32 v12, v36, v34
	v_add_f32_e32 v13, v8, v1
	v_fmac_f32_e32 v19, v15, v54
	v_fmac_f32_e32 v20, v16, v58
	v_fmac_f32_e32 v21, v7, v60
	v_fma_f32 v28, v35, v64, -v63
	v_sub_f32_e32 v7, v30, v38
	v_sub_f32_e32 v15, v8, v1
	;; [unrolled: 1-line block ×4, first 2 shown]
	v_add_f32_e32 v16, v12, v9
	v_sub_f32_e32 v35, v12, v9
	v_add_f32_e32 v11, v11, v13
	v_sub_f32_e32 v12, v7, v12
	v_sub_f32_e32 v9, v9, v7
	v_add_f32_e32 v7, v16, v7
	v_mul_f32_e32 v1, 0x3f4a47b2, v1
	v_mul_f32_e32 v13, 0x3d64c772, v8
	;; [unrolled: 1-line block ×3, first 2 shown]
	v_add_f32_e32 v45, v33, v11
	v_mul_f32_e32 v35, 0x3f5ff5aa, v9
	v_fmamk_f32 v11, v11, 0xbf955555, v45
	v_fma_f32 v13, v15, s13, -v13
	v_fma_f32 v15, v15, s14, -v1
	v_fmac_f32_e32 v1, 0x3d64c772, v8
	v_fma_f32 v8, v9, s12, -v16
	v_fmac_f32_e32 v16, 0x3eae86e6, v12
	v_fma_f32 v9, v12, s15, -v35
	v_add_f32_e32 v12, v13, v11
	v_fmac_f32_e32 v8, 0x3ee1c552, v7
	v_add_f32_e32 v1, v1, v11
	v_add_f32_e32 v11, v15, v11
	v_fmac_f32_e32 v9, 0x3ee1c552, v7
	v_sub_f32_e32 v15, v12, v8
	v_add_f32_e32 v8, v8, v12
	v_mov_b32_e32 v12, 2
	v_fmac_f32_e32 v16, 0x3ee1c552, v7
	v_add_f32_e32 v13, v9, v11
	v_sub_f32_e32 v9, v11, v9
	v_mul_u32_u24_e32 v11, 0x39c, v29
	v_lshlrev_b32_sdwa v12, v12, v66 dst_sel:DWORD dst_unused:UNUSED_PAD src0_sel:DWORD src1_sel:BYTE_0
	v_fma_f32 v26, v56, v60, -v59
	v_fma_f32 v27, v69, v62, -v61
	v_add_f32_e32 v7, v16, v1
	v_add3_u32 v33, 0, v11, v12
	v_lshl_add_u32 v29, v67, 2, 0
	v_sub_f32_e32 v1, v1, v16
	ds_write2_b32 v33, v45, v7 offset1:33
	ds_write2_b32 v33, v13, v15 offset0:66 offset1:99
	ds_write2_b32 v33, v8, v9 offset0:132 offset1:165
	ds_write_b32 v33, v1 offset:792
	s_and_saveexec_b64 s[4:5], s[2:3]
	s_cbranch_execz .LBB0_41
; %bb.40:
	v_add_f32_e32 v1, v24, v28
	v_add_f32_e32 v9, v17, v27
	;; [unrolled: 1-line block ×4, first 2 shown]
	v_sub_f32_e32 v15, v21, v20
	v_sub_f32_e32 v35, v19, v22
	;; [unrolled: 1-line block ×4, first 2 shown]
	v_add_f32_e32 v7, v7, v13
	v_sub_f32_e32 v13, v18, v23
	v_sub_f32_e32 v45, v15, v35
	v_mul_f32_e32 v8, 0x3f4a47b2, v8
	v_mul_f32_e32 v12, 0x3d64c772, v11
	v_add_f32_e32 v10, v10, v7
	v_sub_f32_e32 v16, v13, v15
	v_mul_f32_e32 v45, 0xbf08b237, v45
	v_add_f32_e32 v15, v15, v35
	v_sub_f32_e32 v1, v9, v1
	v_sub_f32_e32 v9, v35, v13
	v_fmamk_f32 v11, v11, 0x3d64c772, v8
	v_fmamk_f32 v7, v7, 0xbf955555, v10
	;; [unrolled: 1-line block ×3, first 2 shown]
	v_add_f32_e32 v15, v15, v13
	v_fma_f32 v8, v1, s14, -v8
	v_mul_f32_e32 v13, 0x3f5ff5aa, v9
	v_fma_f32 v9, v9, s12, -v45
	v_fma_f32 v1, v1, s13, -v12
	v_add_f32_e32 v11, v11, v7
	v_fmac_f32_e32 v46, 0x3ee1c552, v15
	v_fma_f32 v13, v16, s15, -v13
	v_fmac_f32_e32 v9, 0x3ee1c552, v15
	v_add_f32_e32 v1, v1, v7
	v_sub_f32_e32 v47, v11, v46
	v_add_f32_e32 v8, v8, v7
	v_fmac_f32_e32 v13, 0x3ee1c552, v15
	v_add_f32_e32 v7, v9, v1
	v_sub_f32_e32 v1, v1, v9
	v_add_f32_e32 v9, v46, v11
	v_add_u32_e32 v11, 0x1800, v29
	v_sub_f32_e32 v16, v8, v13
	v_add_f32_e32 v8, v13, v8
	ds_write2_b32 v11, v10, v9 offset0:81 offset1:114
	ds_write2_b32 v11, v8, v1 offset0:147 offset1:180
	;; [unrolled: 1-line block ×3, first 2 shown]
	ds_write_b32 v29, v47 offset:7260
.LBB0_41:
	s_or_b64 exec, exec, s[4:5]
	v_add_f32_e32 v1, v30, v38
	v_add_f32_e32 v8, v32, v37
	v_sub_f32_e32 v7, v39, v44
	v_sub_f32_e32 v9, v40, v43
	v_add_f32_e32 v10, v34, v36
	v_sub_f32_e32 v11, v42, v41
	v_add_f32_e32 v12, v8, v1
	v_sub_f32_e32 v13, v8, v1
	v_sub_f32_e32 v1, v1, v10
	;; [unrolled: 1-line block ×3, first 2 shown]
	v_add_f32_e32 v15, v11, v9
	v_sub_f32_e32 v16, v11, v9
	v_sub_f32_e32 v9, v9, v7
	v_add_f32_e32 v10, v10, v12
	v_sub_f32_e32 v11, v7, v11
	v_add_f32_e32 v7, v15, v7
	v_add_f32_e32 v30, v0, v10
	v_mul_f32_e32 v0, 0x3f4a47b2, v1
	v_mul_f32_e32 v1, 0x3d64c772, v8
	;; [unrolled: 1-line block ×4, first 2 shown]
	v_fmamk_f32 v10, v10, 0xbf955555, v30
	v_fma_f32 v1, v13, s13, -v1
	v_fma_f32 v13, v13, s14, -v0
	v_fmac_f32_e32 v0, 0x3d64c772, v8
	v_fma_f32 v8, v9, s12, -v12
	v_fmac_f32_e32 v12, 0x3eae86e6, v11
	v_fma_f32 v9, v11, s15, -v15
	v_add_f32_e32 v0, v0, v10
	v_add_f32_e32 v1, v1, v10
	;; [unrolled: 1-line block ×3, first 2 shown]
	v_fmac_f32_e32 v12, 0x3ee1c552, v7
	v_fmac_f32_e32 v8, 0x3ee1c552, v7
	;; [unrolled: 1-line block ×3, first 2 shown]
	v_add_u32_e32 v7, 0x700, v31
	v_add_u32_e32 v15, 0xe40, v31
	;; [unrolled: 1-line block ×3, first 2 shown]
	v_sub_f32_e32 v32, v0, v12
	v_sub_f32_e32 v34, v10, v9
	v_add_f32_e32 v35, v8, v1
	v_sub_f32_e32 v36, v1, v8
	v_add_f32_e32 v37, v9, v10
	v_add_f32_e32 v38, v12, v0
	s_waitcnt lgkmcnt(0)
	s_barrier
	ds_read2_b32 v[0:1], v31 offset1:231
	ds_read2_b32 v[8:9], v7 offset0:14 offset1:245
	ds_read2_b32 v[10:11], v15 offset0:12 offset1:243
	;; [unrolled: 1-line block ×3, first 2 shown]
	s_waitcnt lgkmcnt(0)
	s_barrier
	ds_write2_b32 v33, v30, v32 offset1:33
	ds_write2_b32 v33, v34, v35 offset0:66 offset1:99
	ds_write2_b32 v33, v36, v37 offset0:132 offset1:165
	ds_write_b32 v33, v38 offset:792
	s_and_saveexec_b64 s[4:5], s[2:3]
	s_cbranch_execz .LBB0_43
; %bb.42:
	v_add_f32_e32 v18, v18, v23
	v_add_f32_e32 v19, v19, v22
	v_sub_f32_e32 v17, v17, v27
	v_add_f32_e32 v20, v20, v21
	v_sub_f32_e32 v21, v26, v25
	v_sub_f32_e32 v23, v24, v28
	v_add_f32_e32 v22, v19, v18
	v_sub_f32_e32 v24, v19, v18
	;; [unrolled: 3-line block ×3, first 2 shown]
	v_sub_f32_e32 v26, v21, v17
	v_sub_f32_e32 v21, v23, v21
	v_sub_f32_e32 v17, v17, v23
	v_add_f32_e32 v20, v20, v22
	v_add_f32_e32 v22, v25, v23
	v_mul_f32_e32 v23, 0x3d64c772, v19
	s_mov_b32 s3, 0x3f3bfb3b
	v_add_f32_e32 v14, v14, v20
	v_mul_f32_e32 v18, 0x3f4a47b2, v18
	v_mul_f32_e32 v25, 0xbf08b237, v26
	s_mov_b32 s2, 0x3f5ff5aa
	v_fma_f32 v23, v24, s3, -v23
	s_mov_b32 s3, 0xbf3bfb3b
	v_mul_f32_e32 v26, 0x3f5ff5aa, v17
	v_fmamk_f32 v20, v20, 0xbf955555, v14
	v_fma_f32 v24, v24, s3, -v18
	v_fmac_f32_e32 v18, 0x3d64c772, v19
	v_fmamk_f32 v19, v21, 0x3eae86e6, v25
	v_fma_f32 v17, v17, s2, -v25
	s_mov_b32 s2, 0xbeae86e6
	v_fma_f32 v21, v21, s2, -v26
	v_add_f32_e32 v18, v18, v20
	v_fmac_f32_e32 v19, 0x3ee1c552, v22
	v_add_f32_e32 v23, v23, v20
	v_add_f32_e32 v20, v24, v20
	v_fmac_f32_e32 v17, 0x3ee1c552, v22
	v_fmac_f32_e32 v21, 0x3ee1c552, v22
	v_sub_f32_e32 v22, v18, v19
	v_add_f32_e32 v18, v19, v18
	v_add_u32_e32 v19, 0x1800, v29
	v_sub_f32_e32 v24, v20, v21
	v_add_f32_e32 v25, v17, v23
	v_sub_f32_e32 v17, v23, v17
	v_add_f32_e32 v20, v21, v20
	ds_write2_b32 v19, v14, v22 offset0:81 offset1:114
	ds_write2_b32 v19, v24, v25 offset0:147 offset1:180
	;; [unrolled: 1-line block ×3, first 2 shown]
	ds_write_b32 v29, v18 offset:7260
.LBB0_43:
	s_or_b64 exec, exec, s[4:5]
	v_mul_u32_u24_e32 v14, 3, v6
	v_lshlrev_b32_e32 v14, 3, v14
	s_waitcnt lgkmcnt(0)
	s_barrier
	global_load_dwordx4 v[18:21], v14, s[8:9] offset:1824
	global_load_dwordx2 v[22:23], v14, s[8:9] offset:1840
	ds_read2_b32 v[24:25], v31 offset1:231
	ds_read2_b32 v[26:27], v7 offset0:14 offset1:245
	ds_read2_b32 v[28:29], v15 offset0:12 offset1:243
	;; [unrolled: 1-line block ×3, first 2 shown]
	s_waitcnt lgkmcnt(0)
	s_barrier
	s_waitcnt vmcnt(1)
	v_mul_f32_e32 v14, v26, v19
	v_mul_f32_e32 v30, v28, v21
	s_waitcnt vmcnt(0)
	v_mul_f32_e32 v35, v32, v23
	v_mul_f32_e32 v37, v27, v19
	;; [unrolled: 1-line block ×10, first 2 shown]
	v_fma_f32 v8, v8, v18, -v14
	v_fma_f32 v10, v10, v20, -v30
	;; [unrolled: 1-line block ×6, first 2 shown]
	v_fmac_f32_e32 v17, v26, v18
	v_fmac_f32_e32 v34, v28, v20
	;; [unrolled: 1-line block ×6, first 2 shown]
	v_sub_f32_e32 v10, v0, v10
	v_sub_f32_e32 v12, v8, v12
	;; [unrolled: 1-line block ×8, first 2 shown]
	v_fma_f32 v0, v0, 2.0, -v10
	v_fma_f32 v8, v8, 2.0, -v12
	;; [unrolled: 1-line block ×5, first 2 shown]
	v_sub_f32_e32 v18, v10, v18
	v_add_f32_e32 v23, v14, v12
	v_fma_f32 v12, v25, 2.0, -v20
	v_fma_f32 v19, v19, 2.0, -v21
	v_sub_f32_e32 v21, v11, v21
	v_sub_f32_e32 v8, v0, v8
	;; [unrolled: 1-line block ×3, first 2 shown]
	v_fma_f32 v10, v10, 2.0, -v18
	v_sub_f32_e32 v19, v12, v19
	v_fma_f32 v11, v11, 2.0, -v21
	v_fma_f32 v0, v0, 2.0, -v8
	;; [unrolled: 1-line block ×4, first 2 shown]
	v_add_f32_e32 v24, v20, v13
	v_fma_f32 v25, v12, 2.0, -v19
	ds_write2_b32 v7, v8, v18 offset0:14 offset1:245
	ds_write2_b32 v16, v9, v21 offset0:10 offset1:241
	ds_write2_b32 v31, v0, v10 offset1:231
	ds_write2_b32 v15, v1, v11 offset0:12 offset1:243
	s_waitcnt lgkmcnt(0)
	s_barrier
	ds_read2_b32 v[12:13], v31 offset1:231
	ds_read2_b32 v[10:11], v15 offset0:12 offset1:243
	ds_read2_b32 v[0:1], v7 offset0:14 offset1:245
	;; [unrolled: 1-line block ×3, first 2 shown]
	v_sub_f32_e32 v17, v22, v17
	v_fma_f32 v14, v14, 2.0, -v23
	v_fma_f32 v22, v22, 2.0, -v17
	;; [unrolled: 1-line block ×3, first 2 shown]
	s_waitcnt lgkmcnt(0)
	s_barrier
	ds_write2_b32 v31, v22, v14 offset1:231
	ds_write2_b32 v7, v17, v23 offset0:14 offset1:245
	ds_write2_b32 v15, v25, v20 offset0:12 offset1:243
	;; [unrolled: 1-line block ×3, first 2 shown]
	s_waitcnt lgkmcnt(0)
	s_barrier
	s_and_saveexec_b64 s[2:3], s[0:1]
	s_cbranch_execz .LBB0_45
; %bb.44:
	v_mov_b32_e32 v15, 0
	v_mov_b32_e32 v7, v15
	v_lshl_add_u64 v[16:17], v[6:7], 3, s[8:9]
	s_movk_i32 s2, 0x1000
	v_add_co_u32_e32 v18, vcc, s2, v16
	s_movk_i32 s0, 0x2000
	s_nop 0
	v_addc_co_u32_e32 v19, vcc, 0, v17, vcc
	v_add_co_u32_e32 v16, vcc, s0, v16
	v_add_u32_e32 v14, 0x2b5, v6
	s_nop 0
	v_addc_co_u32_e32 v17, vcc, 0, v17, vcc
	global_load_dwordx2 v[20:21], v[18:19], off offset:3272
	global_load_dwordx2 v[22:23], v[16:17], off offset:1024
	;; [unrolled: 1-line block ×3, first 2 shown]
	v_lshl_add_u64 v[26:27], v[14:15], 3, s[8:9]
	v_add_co_u32_e32 v26, vcc, s2, v26
	v_mul_lo_u32 v7, s11, v4
	s_nop 0
	v_addc_co_u32_e32 v27, vcc, 0, v27, vcc
	global_load_dwordx2 v[26:27], v[26:27], off offset:3272
	v_mul_lo_u32 v19, s10, v5
	v_mad_u64_u32 v[4:5], s[0:1], s10, v4, 0
	v_add_u32_e32 v29, 0x700, v31
	v_add_u32_e32 v32, 0x1580, v31
	;; [unrolled: 1-line block ×3, first 2 shown]
	v_lshrrev_b32_e32 v36, 2, v6
	s_mov_b32 s0, 0x23769481
	v_add_u32_e32 v37, 0xe7, v6
	ds_read2_b32 v[16:17], v31 offset1:231
	v_add3_u32 v5, v5, v19, v7
	ds_read2_b32 v[30:31], v29 offset0:14 offset1:245
	ds_read2_b32 v[32:33], v32 offset0:10 offset1:241
	;; [unrolled: 1-line block ×3, first 2 shown]
	v_mul_hi_u32 v7, v36, s0
	v_lshrrev_b32_e32 v14, 2, v37
	v_lshrrev_b32_e32 v7, 5, v7
	v_mul_hi_u32 v14, v14, s0
	v_lshl_add_u64 v[4:5], v[4:5], 3, s[6:7]
	v_mul_u32_u24_e32 v7, 0x39c, v7
	v_lshrrev_b32_e32 v29, 5, v14
	v_add_u32_e32 v38, 0x1ce, v6
	v_lshl_add_u64 v[2:3], v[2:3], 3, v[4:5]
	v_sub_u32_e32 v4, v6, v7
	v_mul_u32_u24_e32 v5, 0x39c, v29
	s_movk_i32 s1, 0x738
	v_lshrrev_b32_e32 v19, 2, v38
	v_lshlrev_b32_e32 v14, 3, v4
	v_sub_u32_e32 v36, v37, v5
	v_mul_hi_u32 v19, v19, s0
	v_lshl_add_u64 v[4:5], v[2:3], 0, v[14:15]
	v_mad_u32_u24 v14, v29, s1, v36
	s_waitcnt lgkmcnt(0)
	v_mov_b32_e32 v36, v35
	v_mov_b32_e32 v18, v12
	;; [unrolled: 1-line block ×4, first 2 shown]
	v_lshrrev_b32_e32 v44, 5, v19
	v_mul_u32_u24_e32 v7, 0x39c, v44
	v_mov_b32_e32 v19, v16
	v_mov_b32_e32 v16, v13
	v_sub_u32_e32 v7, v38, v7
	v_add_co_u32_e32 v38, vcc, s2, v4
	v_lshl_add_u64 v[40:41], v[14:15], 3, v[2:3]
	s_nop 0
	v_addc_co_u32_e32 v39, vcc, 0, v5, vcc
	v_add_u32_e32 v14, 0x39c, v14
	v_lshl_add_u64 v[42:43], v[14:15], 3, v[2:3]
	v_mad_u32_u24 v14, v44, s1, v7
	v_lshl_add_u64 v[44:45], v[14:15], 3, v[2:3]
	v_add_u32_e32 v14, 0x39c, v14
	s_waitcnt vmcnt(3)
	v_pk_mul_f32 v[34:35], v[34:35], v[20:21] op_sel:[0,1] op_sel_hi:[0,0]
	s_waitcnt vmcnt(2)
	v_pk_mul_f32 v[36:37], v[36:37], v[22:23] op_sel:[0,1] op_sel_hi:[0,0]
	v_pk_fma_f32 v[46:47], v[10:11], v[20:21], v[34:35] neg_lo:[0,0,1] neg_hi:[0,0,1]
	v_pk_fma_f32 v[10:11], v[10:11], v[20:21], v[34:35] op_sel_hi:[0,1,1]
	v_pk_fma_f32 v[12:13], v[12:13], v[22:23], v[36:37] neg_lo:[0,0,1] neg_hi:[0,0,1]
	v_pk_fma_f32 v[20:21], v[28:29], v[22:23], v[36:37] op_sel_hi:[0,1,1]
	v_mov_b32_e32 v47, v11
	v_mov_b32_e32 v13, v21
	v_pk_add_f32 v[10:11], v[18:19], v[46:47] neg_lo:[0,1] neg_hi:[0,1]
	v_pk_add_f32 v[12:13], v[16:17], v[12:13] neg_lo:[0,1] neg_hi:[0,1]
	v_pk_fma_f32 v[18:19], v[18:19], 2.0, v[10:11] op_sel_hi:[1,0,1] neg_lo:[0,0,1] neg_hi:[0,0,1]
	global_store_dwordx2 v[38:39], v[10:11], off offset:3296
	v_pk_fma_f32 v[10:11], v[16:17], 2.0, v[12:13] op_sel_hi:[1,0,1] neg_lo:[0,0,1] neg_hi:[0,0,1]
	global_store_dwordx2 v[4:5], v[18:19], off
	global_store_dwordx2 v[40:41], v[10:11], off
	;; [unrolled: 1-line block ×3, first 2 shown]
	s_waitcnt vmcnt(5)
	v_pk_mul_f32 v[10:11], v[32:33], v[24:25] op_sel:[0,1] op_sel_hi:[0,0]
	v_pk_fma_f32 v[12:13], v[8:9], v[24:25], v[10:11] neg_lo:[0,0,1] neg_hi:[0,0,1]
	v_pk_fma_f32 v[10:11], v[8:9], v[24:25], v[10:11] op_sel_hi:[0,1,1]
	v_mov_b32_e32 v13, v11
	v_mov_b32_e32 v10, v0
	;; [unrolled: 1-line block ×3, first 2 shown]
	v_pk_add_f32 v[12:13], v[10:11], v[12:13] neg_lo:[0,1] neg_hi:[0,1]
	v_lshl_add_u64 v[4:5], v[14:15], 3, v[2:3]
	v_pk_fma_f32 v[10:11], v[10:11], 2.0, v[12:13] op_sel_hi:[1,0,1] neg_lo:[0,0,1] neg_hi:[0,0,1]
	v_add_u32_e32 v0, 0x2b5, v6
	global_store_dwordx2 v[44:45], v[10:11], off
	global_store_dwordx2 v[4:5], v[12:13], off
	v_lshrrev_b32_e32 v4, 2, v0
	v_mul_hi_u32 v4, v4, s0
	v_lshrrev_b32_e32 v4, 5, v4
	v_mul_u32_u24_e32 v5, 0x39c, v4
	v_sub_u32_e32 v0, v0, v5
	v_mov_b32_e32 v8, v33
	v_mad_u32_u24 v14, v4, s1, v0
	v_mov_b32_e32 v0, v9
	v_mov_b32_e32 v6, v9
	s_waitcnt vmcnt(6)
	v_pk_mul_f32 v[8:9], v[8:9], v[26:27] op_sel:[0,1] op_sel_hi:[0,0]
	v_pk_fma_f32 v[10:11], v[0:1], v[26:27], v[8:9] neg_lo:[0,0,1] neg_hi:[0,0,1]
	v_pk_fma_f32 v[6:7], v[6:7], v[26:27], v[8:9] op_sel_hi:[0,1,1]
	v_mov_b32_e32 v11, v7
	v_mov_b32_e32 v30, v1
	v_pk_add_f32 v[0:1], v[30:31], v[10:11] neg_lo:[0,1] neg_hi:[0,1]
	v_lshl_add_u64 v[4:5], v[14:15], 3, v[2:3]
	v_add_u32_e32 v14, 0x39c, v14
	v_pk_fma_f32 v[6:7], v[30:31], 2.0, v[0:1] op_sel_hi:[1,0,1] neg_lo:[0,0,1] neg_hi:[0,0,1]
	v_lshl_add_u64 v[2:3], v[14:15], 3, v[2:3]
	global_store_dwordx2 v[4:5], v[6:7], off
	global_store_dwordx2 v[2:3], v[0:1], off
.LBB0_45:
	s_endpgm
	.section	.rodata,"a",@progbits
	.p2align	6, 0x0
	.amdhsa_kernel fft_rtc_fwd_len1848_factors_3_11_7_4_2_wgs_231_tpt_231_halfLds_sp_op_CI_CI_unitstride_sbrr_dirReg
		.amdhsa_group_segment_fixed_size 0
		.amdhsa_private_segment_fixed_size 0
		.amdhsa_kernarg_size 104
		.amdhsa_user_sgpr_count 2
		.amdhsa_user_sgpr_dispatch_ptr 0
		.amdhsa_user_sgpr_queue_ptr 0
		.amdhsa_user_sgpr_kernarg_segment_ptr 1
		.amdhsa_user_sgpr_dispatch_id 0
		.amdhsa_user_sgpr_kernarg_preload_length 0
		.amdhsa_user_sgpr_kernarg_preload_offset 0
		.amdhsa_user_sgpr_private_segment_size 0
		.amdhsa_uses_dynamic_stack 0
		.amdhsa_enable_private_segment 0
		.amdhsa_system_sgpr_workgroup_id_x 1
		.amdhsa_system_sgpr_workgroup_id_y 0
		.amdhsa_system_sgpr_workgroup_id_z 0
		.amdhsa_system_sgpr_workgroup_info 0
		.amdhsa_system_vgpr_workitem_id 0
		.amdhsa_next_free_vgpr 96
		.amdhsa_next_free_sgpr 38
		.amdhsa_accum_offset 96
		.amdhsa_reserve_vcc 1
		.amdhsa_float_round_mode_32 0
		.amdhsa_float_round_mode_16_64 0
		.amdhsa_float_denorm_mode_32 3
		.amdhsa_float_denorm_mode_16_64 3
		.amdhsa_dx10_clamp 1
		.amdhsa_ieee_mode 1
		.amdhsa_fp16_overflow 0
		.amdhsa_tg_split 0
		.amdhsa_exception_fp_ieee_invalid_op 0
		.amdhsa_exception_fp_denorm_src 0
		.amdhsa_exception_fp_ieee_div_zero 0
		.amdhsa_exception_fp_ieee_overflow 0
		.amdhsa_exception_fp_ieee_underflow 0
		.amdhsa_exception_fp_ieee_inexact 0
		.amdhsa_exception_int_div_zero 0
	.end_amdhsa_kernel
	.text
.Lfunc_end0:
	.size	fft_rtc_fwd_len1848_factors_3_11_7_4_2_wgs_231_tpt_231_halfLds_sp_op_CI_CI_unitstride_sbrr_dirReg, .Lfunc_end0-fft_rtc_fwd_len1848_factors_3_11_7_4_2_wgs_231_tpt_231_halfLds_sp_op_CI_CI_unitstride_sbrr_dirReg
                                        ; -- End function
	.section	.AMDGPU.csdata,"",@progbits
; Kernel info:
; codeLenInByte = 8136
; NumSgprs: 44
; NumVgprs: 96
; NumAgprs: 0
; TotalNumVgprs: 96
; ScratchSize: 0
; MemoryBound: 0
; FloatMode: 240
; IeeeMode: 1
; LDSByteSize: 0 bytes/workgroup (compile time only)
; SGPRBlocks: 5
; VGPRBlocks: 11
; NumSGPRsForWavesPerEU: 44
; NumVGPRsForWavesPerEU: 96
; AccumOffset: 96
; Occupancy: 5
; WaveLimiterHint : 1
; COMPUTE_PGM_RSRC2:SCRATCH_EN: 0
; COMPUTE_PGM_RSRC2:USER_SGPR: 2
; COMPUTE_PGM_RSRC2:TRAP_HANDLER: 0
; COMPUTE_PGM_RSRC2:TGID_X_EN: 1
; COMPUTE_PGM_RSRC2:TGID_Y_EN: 0
; COMPUTE_PGM_RSRC2:TGID_Z_EN: 0
; COMPUTE_PGM_RSRC2:TIDIG_COMP_CNT: 0
; COMPUTE_PGM_RSRC3_GFX90A:ACCUM_OFFSET: 23
; COMPUTE_PGM_RSRC3_GFX90A:TG_SPLIT: 0
	.text
	.p2alignl 6, 3212836864
	.fill 256, 4, 3212836864
	.type	__hip_cuid_fc44588a2dcf607d,@object ; @__hip_cuid_fc44588a2dcf607d
	.section	.bss,"aw",@nobits
	.globl	__hip_cuid_fc44588a2dcf607d
__hip_cuid_fc44588a2dcf607d:
	.byte	0                               ; 0x0
	.size	__hip_cuid_fc44588a2dcf607d, 1

	.ident	"AMD clang version 19.0.0git (https://github.com/RadeonOpenCompute/llvm-project roc-6.4.0 25133 c7fe45cf4b819c5991fe208aaa96edf142730f1d)"
	.section	".note.GNU-stack","",@progbits
	.addrsig
	.addrsig_sym __hip_cuid_fc44588a2dcf607d
	.amdgpu_metadata
---
amdhsa.kernels:
  - .agpr_count:     0
    .args:
      - .actual_access:  read_only
        .address_space:  global
        .offset:         0
        .size:           8
        .value_kind:     global_buffer
      - .offset:         8
        .size:           8
        .value_kind:     by_value
      - .actual_access:  read_only
        .address_space:  global
        .offset:         16
        .size:           8
        .value_kind:     global_buffer
      - .actual_access:  read_only
        .address_space:  global
        .offset:         24
        .size:           8
        .value_kind:     global_buffer
      - .actual_access:  read_only
        .address_space:  global
        .offset:         32
        .size:           8
        .value_kind:     global_buffer
      - .offset:         40
        .size:           8
        .value_kind:     by_value
      - .actual_access:  read_only
        .address_space:  global
        .offset:         48
        .size:           8
        .value_kind:     global_buffer
      - .actual_access:  read_only
        .address_space:  global
        .offset:         56
        .size:           8
        .value_kind:     global_buffer
      - .offset:         64
        .size:           4
        .value_kind:     by_value
      - .actual_access:  read_only
        .address_space:  global
        .offset:         72
        .size:           8
        .value_kind:     global_buffer
      - .actual_access:  read_only
        .address_space:  global
        .offset:         80
        .size:           8
        .value_kind:     global_buffer
      - .actual_access:  read_only
        .address_space:  global
        .offset:         88
        .size:           8
        .value_kind:     global_buffer
      - .actual_access:  write_only
        .address_space:  global
        .offset:         96
        .size:           8
        .value_kind:     global_buffer
    .group_segment_fixed_size: 0
    .kernarg_segment_align: 8
    .kernarg_segment_size: 104
    .language:       OpenCL C
    .language_version:
      - 2
      - 0
    .max_flat_workgroup_size: 231
    .name:           fft_rtc_fwd_len1848_factors_3_11_7_4_2_wgs_231_tpt_231_halfLds_sp_op_CI_CI_unitstride_sbrr_dirReg
    .private_segment_fixed_size: 0
    .sgpr_count:     44
    .sgpr_spill_count: 0
    .symbol:         fft_rtc_fwd_len1848_factors_3_11_7_4_2_wgs_231_tpt_231_halfLds_sp_op_CI_CI_unitstride_sbrr_dirReg.kd
    .uniform_work_group_size: 1
    .uses_dynamic_stack: false
    .vgpr_count:     96
    .vgpr_spill_count: 0
    .wavefront_size: 64
amdhsa.target:   amdgcn-amd-amdhsa--gfx950
amdhsa.version:
  - 1
  - 2
...

	.end_amdgpu_metadata
